;; amdgpu-corpus repo=ROCm/rocFFT kind=compiled arch=gfx1030 opt=O3
	.text
	.amdgcn_target "amdgcn-amd-amdhsa--gfx1030"
	.amdhsa_code_object_version 6
	.protected	fft_rtc_back_len405_factors_5_3_3_3_3_wgs_108_tpt_27_halfLds_sp_ip_CI_unitstride_sbrr_dirReg ; -- Begin function fft_rtc_back_len405_factors_5_3_3_3_3_wgs_108_tpt_27_halfLds_sp_ip_CI_unitstride_sbrr_dirReg
	.globl	fft_rtc_back_len405_factors_5_3_3_3_3_wgs_108_tpt_27_halfLds_sp_ip_CI_unitstride_sbrr_dirReg
	.p2align	8
	.type	fft_rtc_back_len405_factors_5_3_3_3_3_wgs_108_tpt_27_halfLds_sp_ip_CI_unitstride_sbrr_dirReg,@function
fft_rtc_back_len405_factors_5_3_3_3_3_wgs_108_tpt_27_halfLds_sp_ip_CI_unitstride_sbrr_dirReg: ; @fft_rtc_back_len405_factors_5_3_3_3_3_wgs_108_tpt_27_halfLds_sp_ip_CI_unitstride_sbrr_dirReg
; %bb.0:
	s_clause 0x2
	s_load_dwordx4 s[8:11], s[4:5], 0x0
	s_load_dwordx2 s[2:3], s[4:5], 0x50
	s_load_dwordx2 s[12:13], s[4:5], 0x18
	v_mul_u32_u24_e32 v1, 0x97c, v0
	v_mov_b32_e32 v3, 0
	v_lshrrev_b32_e32 v34, 16, v1
	v_mov_b32_e32 v1, 0
	v_mov_b32_e32 v6, v3
	v_mov_b32_e32 v2, 0
	v_lshl_add_u32 v5, s6, 2, v34
	s_waitcnt lgkmcnt(0)
	v_cmp_lt_u64_e64 s0, s[10:11], 2
	s_and_b32 vcc_lo, exec_lo, s0
	s_cbranch_vccnz .LBB0_8
; %bb.1:
	s_load_dwordx2 s[0:1], s[4:5], 0x10
	v_mov_b32_e32 v1, 0
	s_add_u32 s6, s12, 8
	v_mov_b32_e32 v2, 0
	s_addc_u32 s7, s13, 0
	s_mov_b64 s[16:17], 1
	s_waitcnt lgkmcnt(0)
	s_add_u32 s14, s0, 8
	s_addc_u32 s15, s1, 0
.LBB0_2:                                ; =>This Inner Loop Header: Depth=1
	s_load_dwordx2 s[18:19], s[14:15], 0x0
                                        ; implicit-def: $vgpr7_vgpr8
	s_mov_b32 s0, exec_lo
	s_waitcnt lgkmcnt(0)
	v_or_b32_e32 v4, s19, v6
	v_cmpx_ne_u64_e32 0, v[3:4]
	s_xor_b32 s1, exec_lo, s0
	s_cbranch_execz .LBB0_4
; %bb.3:                                ;   in Loop: Header=BB0_2 Depth=1
	v_cvt_f32_u32_e32 v4, s18
	v_cvt_f32_u32_e32 v7, s19
	s_sub_u32 s0, 0, s18
	s_subb_u32 s20, 0, s19
	v_fmac_f32_e32 v4, 0x4f800000, v7
	v_rcp_f32_e32 v4, v4
	v_mul_f32_e32 v4, 0x5f7ffffc, v4
	v_mul_f32_e32 v7, 0x2f800000, v4
	v_trunc_f32_e32 v7, v7
	v_fmac_f32_e32 v4, 0xcf800000, v7
	v_cvt_u32_f32_e32 v7, v7
	v_cvt_u32_f32_e32 v4, v4
	v_mul_lo_u32 v8, s0, v7
	v_mul_hi_u32 v9, s0, v4
	v_mul_lo_u32 v10, s20, v4
	v_add_nc_u32_e32 v8, v9, v8
	v_mul_lo_u32 v9, s0, v4
	v_add_nc_u32_e32 v8, v8, v10
	v_mul_hi_u32 v10, v4, v9
	v_mul_lo_u32 v11, v4, v8
	v_mul_hi_u32 v12, v4, v8
	v_mul_hi_u32 v13, v7, v9
	v_mul_lo_u32 v9, v7, v9
	v_mul_hi_u32 v14, v7, v8
	v_mul_lo_u32 v8, v7, v8
	v_add_co_u32 v10, vcc_lo, v10, v11
	v_add_co_ci_u32_e32 v11, vcc_lo, 0, v12, vcc_lo
	v_add_co_u32 v9, vcc_lo, v10, v9
	v_add_co_ci_u32_e32 v9, vcc_lo, v11, v13, vcc_lo
	v_add_co_ci_u32_e32 v10, vcc_lo, 0, v14, vcc_lo
	v_add_co_u32 v8, vcc_lo, v9, v8
	v_add_co_ci_u32_e32 v9, vcc_lo, 0, v10, vcc_lo
	v_add_co_u32 v4, vcc_lo, v4, v8
	v_add_co_ci_u32_e32 v7, vcc_lo, v7, v9, vcc_lo
	v_mul_hi_u32 v8, s0, v4
	v_mul_lo_u32 v10, s20, v4
	v_mul_lo_u32 v9, s0, v7
	v_add_nc_u32_e32 v8, v8, v9
	v_mul_lo_u32 v9, s0, v4
	v_add_nc_u32_e32 v8, v8, v10
	v_mul_hi_u32 v10, v4, v9
	v_mul_lo_u32 v11, v4, v8
	v_mul_hi_u32 v12, v4, v8
	v_mul_hi_u32 v13, v7, v9
	v_mul_lo_u32 v9, v7, v9
	v_mul_hi_u32 v14, v7, v8
	v_mul_lo_u32 v8, v7, v8
	v_add_co_u32 v10, vcc_lo, v10, v11
	v_add_co_ci_u32_e32 v11, vcc_lo, 0, v12, vcc_lo
	v_add_co_u32 v9, vcc_lo, v10, v9
	v_add_co_ci_u32_e32 v9, vcc_lo, v11, v13, vcc_lo
	v_add_co_ci_u32_e32 v10, vcc_lo, 0, v14, vcc_lo
	v_add_co_u32 v8, vcc_lo, v9, v8
	v_add_co_ci_u32_e32 v9, vcc_lo, 0, v10, vcc_lo
	v_add_co_u32 v4, vcc_lo, v4, v8
	v_add_co_ci_u32_e32 v11, vcc_lo, v7, v9, vcc_lo
	v_mul_hi_u32 v13, v5, v4
	v_mad_u64_u32 v[9:10], null, v6, v4, 0
	v_mad_u64_u32 v[7:8], null, v5, v11, 0
	;; [unrolled: 1-line block ×3, first 2 shown]
	v_add_co_u32 v4, vcc_lo, v13, v7
	v_add_co_ci_u32_e32 v7, vcc_lo, 0, v8, vcc_lo
	v_add_co_u32 v4, vcc_lo, v4, v9
	v_add_co_ci_u32_e32 v4, vcc_lo, v7, v10, vcc_lo
	v_add_co_ci_u32_e32 v7, vcc_lo, 0, v12, vcc_lo
	v_add_co_u32 v4, vcc_lo, v4, v11
	v_add_co_ci_u32_e32 v9, vcc_lo, 0, v7, vcc_lo
	v_mul_lo_u32 v10, s19, v4
	v_mad_u64_u32 v[7:8], null, s18, v4, 0
	v_mul_lo_u32 v11, s18, v9
	v_sub_co_u32 v7, vcc_lo, v5, v7
	v_add3_u32 v8, v8, v11, v10
	v_sub_nc_u32_e32 v10, v6, v8
	v_subrev_co_ci_u32_e64 v10, s0, s19, v10, vcc_lo
	v_add_co_u32 v11, s0, v4, 2
	v_add_co_ci_u32_e64 v12, s0, 0, v9, s0
	v_sub_co_u32 v13, s0, v7, s18
	v_sub_co_ci_u32_e32 v8, vcc_lo, v6, v8, vcc_lo
	v_subrev_co_ci_u32_e64 v10, s0, 0, v10, s0
	v_cmp_le_u32_e32 vcc_lo, s18, v13
	v_cmp_eq_u32_e64 s0, s19, v8
	v_cndmask_b32_e64 v13, 0, -1, vcc_lo
	v_cmp_le_u32_e32 vcc_lo, s19, v10
	v_cndmask_b32_e64 v14, 0, -1, vcc_lo
	v_cmp_le_u32_e32 vcc_lo, s18, v7
	;; [unrolled: 2-line block ×3, first 2 shown]
	v_cndmask_b32_e64 v15, 0, -1, vcc_lo
	v_cmp_eq_u32_e32 vcc_lo, s19, v10
	v_cndmask_b32_e64 v7, v15, v7, s0
	v_cndmask_b32_e32 v10, v14, v13, vcc_lo
	v_add_co_u32 v13, vcc_lo, v4, 1
	v_add_co_ci_u32_e32 v14, vcc_lo, 0, v9, vcc_lo
	v_cmp_ne_u32_e32 vcc_lo, 0, v10
	v_cndmask_b32_e32 v8, v14, v12, vcc_lo
	v_cndmask_b32_e32 v10, v13, v11, vcc_lo
	v_cmp_ne_u32_e32 vcc_lo, 0, v7
	v_cndmask_b32_e32 v8, v9, v8, vcc_lo
	v_cndmask_b32_e32 v7, v4, v10, vcc_lo
.LBB0_4:                                ;   in Loop: Header=BB0_2 Depth=1
	s_andn2_saveexec_b32 s0, s1
	s_cbranch_execz .LBB0_6
; %bb.5:                                ;   in Loop: Header=BB0_2 Depth=1
	v_cvt_f32_u32_e32 v4, s18
	s_sub_i32 s1, 0, s18
	v_rcp_iflag_f32_e32 v4, v4
	v_mul_f32_e32 v4, 0x4f7ffffe, v4
	v_cvt_u32_f32_e32 v4, v4
	v_mul_lo_u32 v7, s1, v4
	v_mul_hi_u32 v7, v4, v7
	v_add_nc_u32_e32 v4, v4, v7
	v_mul_hi_u32 v4, v5, v4
	v_mul_lo_u32 v7, v4, s18
	v_add_nc_u32_e32 v8, 1, v4
	v_sub_nc_u32_e32 v7, v5, v7
	v_subrev_nc_u32_e32 v9, s18, v7
	v_cmp_le_u32_e32 vcc_lo, s18, v7
	v_cndmask_b32_e32 v7, v7, v9, vcc_lo
	v_cndmask_b32_e32 v4, v4, v8, vcc_lo
	v_cmp_le_u32_e32 vcc_lo, s18, v7
	v_add_nc_u32_e32 v8, 1, v4
	v_cndmask_b32_e32 v7, v4, v8, vcc_lo
	v_mov_b32_e32 v8, v3
.LBB0_6:                                ;   in Loop: Header=BB0_2 Depth=1
	s_or_b32 exec_lo, exec_lo, s0
	s_load_dwordx2 s[0:1], s[6:7], 0x0
	v_mul_lo_u32 v4, v8, s18
	v_mul_lo_u32 v11, v7, s19
	v_mad_u64_u32 v[9:10], null, v7, s18, 0
	s_add_u32 s16, s16, 1
	s_addc_u32 s17, s17, 0
	s_add_u32 s6, s6, 8
	s_addc_u32 s7, s7, 0
	;; [unrolled: 2-line block ×3, first 2 shown]
	v_add3_u32 v4, v10, v11, v4
	v_sub_co_u32 v5, vcc_lo, v5, v9
	v_sub_co_ci_u32_e32 v4, vcc_lo, v6, v4, vcc_lo
	s_waitcnt lgkmcnt(0)
	v_mul_lo_u32 v6, s1, v5
	v_mul_lo_u32 v4, s0, v4
	v_mad_u64_u32 v[1:2], null, s0, v5, v[1:2]
	v_cmp_ge_u64_e64 s0, s[16:17], s[10:11]
	s_and_b32 vcc_lo, exec_lo, s0
	v_add3_u32 v2, v6, v2, v4
	s_cbranch_vccnz .LBB0_9
; %bb.7:                                ;   in Loop: Header=BB0_2 Depth=1
	v_mov_b32_e32 v5, v7
	v_mov_b32_e32 v6, v8
	s_branch .LBB0_2
.LBB0_8:
	v_mov_b32_e32 v8, v6
	v_mov_b32_e32 v7, v5
.LBB0_9:
	s_lshl_b64 s[0:1], s[10:11], 3
	v_mul_hi_u32 v5, 0x97b425f, v0
	s_add_u32 s0, s12, s0
	s_addc_u32 s1, s13, s1
                                        ; implicit-def: $vgpr17
                                        ; implicit-def: $vgpr13
                                        ; implicit-def: $vgpr15
                                        ; implicit-def: $vgpr11
                                        ; implicit-def: $vgpr25
                                        ; implicit-def: $vgpr23
                                        ; implicit-def: $vgpr21
                                        ; implicit-def: $vgpr19
                                        ; implicit-def: $vgpr33
                                        ; implicit-def: $vgpr31
                                        ; implicit-def: $vgpr29
                                        ; implicit-def: $vgpr27
                                        ; implicit-def: $vgpr9
	s_load_dwordx2 s[0:1], s[0:1], 0x0
	s_load_dwordx2 s[4:5], s[4:5], 0x20
	s_waitcnt lgkmcnt(0)
	v_mul_lo_u32 v3, s0, v8
	v_mul_lo_u32 v4, s1, v7
	v_mad_u64_u32 v[1:2], null, s0, v7, v[1:2]
	v_cmp_gt_u64_e32 vcc_lo, s[4:5], v[7:8]
                                        ; implicit-def: $vgpr7
	v_add3_u32 v2, v4, v2, v3
	v_mul_u32_u24_e32 v3, 27, v5
                                        ; implicit-def: $vgpr5
	v_lshlrev_b64 v[1:2], 3, v[1:2]
	v_sub_nc_u32_e32 v3, v0, v3
	s_and_saveexec_b32 s1, vcc_lo
; %bb.10:
	v_mov_b32_e32 v4, 0
	v_add_co_u32 v0, s0, s2, v1
	v_add_co_ci_u32_e64 v6, s0, s3, v2, s0
	v_lshlrev_b64 v[4:5], 3, v[3:4]
	v_add_co_u32 v14, s0, v0, v4
	v_add_co_ci_u32_e64 v15, s0, v6, v5, s0
	v_add_co_u32 v16, s0, 0x800, v14
	v_add_co_ci_u32_e64 v17, s0, 0, v15, s0
	s_clause 0xe
	global_load_dwordx2 v[8:9], v[14:15], off
	global_load_dwordx2 v[4:5], v[14:15], off offset:216
	global_load_dwordx2 v[18:19], v[14:15], off offset:864
	global_load_dwordx2 v[20:21], v[14:15], off offset:1512
	global_load_dwordx2 v[26:27], v[14:15], off offset:648
	global_load_dwordx2 v[6:7], v[14:15], off offset:432
	global_load_dwordx2 v[28:29], v[14:15], off offset:1296
	global_load_dwordx2 v[10:11], v[14:15], off offset:1080
	global_load_dwordx2 v[22:23], v[16:17], off offset:112
	global_load_dwordx2 v[12:13], v[16:17], off offset:328
	global_load_dwordx2 v[30:31], v[14:15], off offset:1944
	global_load_dwordx2 v[14:15], v[14:15], off offset:1728
	global_load_dwordx2 v[32:33], v[16:17], off offset:544
	global_load_dwordx2 v[24:25], v[16:17], off offset:760
	global_load_dwordx2 v[16:17], v[16:17], off offset:976
; %bb.11:
	s_or_b32 exec_lo, exec_lo, s1
	s_waitcnt vmcnt(4)
	v_add_f32_e32 v0, v30, v28
	s_waitcnt vmcnt(2)
	v_add_f32_e32 v40, v32, v26
	v_add_f32_e32 v35, v26, v8
	v_sub_f32_e32 v36, v27, v33
	v_sub_f32_e32 v37, v29, v31
	v_fma_f32 v0, -0.5, v0, v8
	v_sub_f32_e32 v38, v26, v28
	v_sub_f32_e32 v39, v32, v30
	v_fmac_f32_e32 v8, -0.5, v40
	v_add_f32_e32 v35, v28, v35
	v_fmamk_f32 v41, v36, 0xbf737871, v0
	v_fmac_f32_e32 v0, 0x3f737871, v36
	v_add_f32_e32 v38, v39, v38
	v_fmamk_f32 v39, v37, 0x3f737871, v8
	v_add_f32_e32 v43, v27, v9
	v_add_f32_e32 v44, v31, v29
	v_fmac_f32_e32 v8, 0xbf737871, v37
	v_sub_f32_e32 v42, v28, v26
	v_add_f32_e32 v35, v30, v35
	v_fmac_f32_e32 v41, 0xbf167918, v37
	v_fmac_f32_e32 v0, 0x3f167918, v37
	;; [unrolled: 1-line block ×3, first 2 shown]
	v_add_f32_e32 v37, v29, v43
	v_fma_f32 v43, -0.5, v44, v9
	v_sub_f32_e32 v26, v26, v32
	v_fmac_f32_e32 v8, 0x3f167918, v36
	v_add_f32_e32 v36, v33, v27
	v_add_f32_e32 v35, v32, v35
	v_sub_f32_e32 v40, v30, v32
	v_add_f32_e32 v32, v31, v37
	v_fmamk_f32 v44, v26, 0x3f737871, v43
	v_sub_f32_e32 v28, v28, v30
	v_sub_f32_e32 v30, v27, v29
	;; [unrolled: 1-line block ×3, first 2 shown]
	v_fmac_f32_e32 v9, -0.5, v36
	v_fmac_f32_e32 v43, 0xbf737871, v26
	v_sub_f32_e32 v27, v29, v27
	v_sub_f32_e32 v29, v31, v33
	v_add_f32_e32 v31, v22, v20
	v_add_f32_e32 v45, v33, v32
	v_fmac_f32_e32 v44, 0x3f167918, v28
	v_add_f32_e32 v30, v37, v30
	v_fmamk_f32 v46, v28, 0xbf737871, v9
	v_fmac_f32_e32 v43, 0xbf167918, v28
	v_add_f32_e32 v27, v29, v27
	v_add_f32_e32 v29, v18, v4
	v_fma_f32 v31, -0.5, v31, v4
	s_waitcnt vmcnt(1)
	v_sub_f32_e32 v32, v19, v25
	v_fmac_f32_e32 v9, 0x3f737871, v28
	v_add_f32_e32 v37, v24, v18
	v_fmac_f32_e32 v44, 0x3e9e377a, v30
	v_fmac_f32_e32 v46, 0x3f167918, v26
	;; [unrolled: 1-line block ×3, first 2 shown]
	v_add_f32_e32 v28, v20, v29
	v_fmamk_f32 v29, v32, 0xbf737871, v31
	v_sub_f32_e32 v30, v21, v23
	v_fmac_f32_e32 v9, 0xbf167918, v26
	v_fmac_f32_e32 v4, -0.5, v37
	v_fmac_f32_e32 v31, 0x3f737871, v32
	v_add_f32_e32 v37, v19, v5
	v_fmac_f32_e32 v41, 0x3e9e377a, v38
	v_fmac_f32_e32 v0, 0x3e9e377a, v38
	;; [unrolled: 1-line block ×3, first 2 shown]
	v_sub_f32_e32 v33, v18, v20
	v_sub_f32_e32 v36, v24, v22
	v_add_f32_e32 v26, v22, v28
	v_fmac_f32_e32 v29, 0xbf167918, v30
	v_fmac_f32_e32 v9, 0x3e9e377a, v27
	v_fmamk_f32 v27, v30, 0x3f737871, v4
	v_fmac_f32_e32 v31, 0x3f167918, v30
	v_add_f32_e32 v38, v23, v21
	v_fmac_f32_e32 v4, 0xbf737871, v30
	v_add_f32_e32 v30, v21, v37
	v_add_f32_e32 v28, v36, v33
	v_add_f32_e32 v26, v24, v26
	v_sub_f32_e32 v33, v20, v18
	v_sub_f32_e32 v36, v22, v24
	v_fma_f32 v47, -0.5, v38, v5
	v_sub_f32_e32 v18, v18, v24
	v_add_f32_e32 v24, v23, v30
	v_add_f32_e32 v30, v25, v19
	v_fmac_f32_e32 v29, 0x3e9e377a, v28
	v_fmac_f32_e32 v27, 0xbf167918, v32
	;; [unrolled: 1-line block ×4, first 2 shown]
	v_fmamk_f32 v28, v18, 0x3f737871, v47
	v_sub_f32_e32 v20, v20, v22
	v_sub_f32_e32 v22, v19, v21
	;; [unrolled: 1-line block ×3, first 2 shown]
	v_fmac_f32_e32 v5, -0.5, v30
	v_fmac_f32_e32 v47, 0xbf737871, v18
	v_sub_f32_e32 v19, v21, v19
	v_sub_f32_e32 v21, v23, v25
	v_add_f32_e32 v23, v12, v14
	v_add_f32_e32 v48, v25, v24
	v_fmac_f32_e32 v28, 0x3f167918, v20
	v_add_f32_e32 v22, v32, v22
	v_fmamk_f32 v49, v20, 0xbf737871, v5
	v_fmac_f32_e32 v47, 0xbf167918, v20
	v_add_f32_e32 v19, v21, v19
	v_add_f32_e32 v21, v10, v6
	v_fma_f32 v23, -0.5, v23, v6
	s_waitcnt vmcnt(0)
	v_sub_f32_e32 v24, v11, v17
	v_fmac_f32_e32 v5, 0x3f737871, v20
	v_add_f32_e32 v32, v16, v10
	v_fmac_f32_e32 v28, 0x3e9e377a, v22
	v_fmac_f32_e32 v49, 0x3f167918, v18
	v_fmac_f32_e32 v47, 0x3e9e377a, v22
	v_add_f32_e32 v20, v14, v21
	v_fmamk_f32 v21, v24, 0xbf737871, v23
	v_sub_f32_e32 v22, v15, v13
	v_sub_f32_e32 v25, v10, v14
	;; [unrolled: 1-line block ×3, first 2 shown]
	v_fmac_f32_e32 v5, 0xbf167918, v18
	v_fmac_f32_e32 v6, -0.5, v32
	v_fmac_f32_e32 v23, 0x3f737871, v24
	v_add_f32_e32 v32, v11, v7
	v_and_b32_e32 v34, 3, v34
	v_add_f32_e32 v33, v36, v33
	v_fmac_f32_e32 v49, 0x3e9e377a, v19
	v_add_f32_e32 v18, v12, v20
	v_fmac_f32_e32 v21, 0xbf167918, v22
	;; [unrolled: 2-line block ×3, first 2 shown]
	v_fmamk_f32 v19, v22, 0x3f737871, v6
	v_sub_f32_e32 v25, v14, v10
	v_sub_f32_e32 v30, v12, v16
	v_fmac_f32_e32 v23, 0x3f167918, v22
	v_fmac_f32_e32 v6, 0xbf737871, v22
	v_add_f32_e32 v22, v15, v32
	v_mul_u32_u24_e32 v34, 0x195, v34
	v_fmac_f32_e32 v27, 0x3e9e377a, v33
	v_fmac_f32_e32 v4, 0x3e9e377a, v33
	v_add_f32_e32 v18, v16, v18
	v_add_f32_e32 v33, v13, v15
	v_fmac_f32_e32 v19, 0xbf167918, v24
	v_add_f32_e32 v25, v30, v25
	v_sub_f32_e32 v16, v10, v16
	v_fmac_f32_e32 v6, 0x3f167918, v24
	v_add_f32_e32 v10, v13, v22
	v_fma_f32 v50, -0.5, v33, v7
	v_fmac_f32_e32 v19, 0x3e9e377a, v25
	v_sub_f32_e32 v12, v14, v12
	v_add_f32_e32 v14, v17, v11
	v_fmac_f32_e32 v6, 0x3e9e377a, v25
	v_add_f32_e32 v25, v17, v10
	v_lshlrev_b32_e32 v10, 2, v34
	v_fmac_f32_e32 v21, 0x3e9e377a, v20
	v_fmac_f32_e32 v23, 0x3e9e377a, v20
	v_fmamk_f32 v20, v16, 0x3f737871, v50
	v_sub_f32_e32 v22, v11, v15
	v_sub_f32_e32 v24, v17, v13
	v_fmac_f32_e32 v7, -0.5, v14
	v_fmac_f32_e32 v50, 0xbf737871, v16
	v_sub_f32_e32 v15, v15, v11
	v_sub_f32_e32 v13, v13, v17
	v_add_nc_u32_e32 v11, 0, v10
	v_add_f32_e32 v40, v40, v42
	v_fmac_f32_e32 v20, 0x3f167918, v12
	v_fmamk_f32 v51, v12, 0xbf737871, v7
	v_fmac_f32_e32 v7, 0x3f737871, v12
	v_fmac_f32_e32 v50, 0xbf167918, v12
	v_add_f32_e32 v12, v13, v15
	v_mad_u32_u24 v13, v3, 20, v11
	v_fmac_f32_e32 v39, 0x3e9e377a, v40
	v_fmac_f32_e32 v8, 0x3e9e377a, v40
	ds_write2_b32 v13, v35, v41 offset1:1
	ds_write2_b32 v13, v39, v8 offset0:2 offset1:3
	ds_write2_b32 v13, v26, v29 offset0:135 offset1:136
	;; [unrolled: 1-line block ×4, first 2 shown]
	v_and_b32_e32 v4, 0xff, v3
	v_lshlrev_b32_e32 v0, 2, v3
	v_fmac_f32_e32 v51, 0x3f167918, v16
	v_fmac_f32_e32 v7, 0xbf167918, v16
	v_add_f32_e32 v14, v24, v22
	v_mul_lo_u16 v4, 0xcd, v4
	v_add3_u32 v22, 0, v0, v10
	v_fmac_f32_e32 v51, 0x3e9e377a, v12
	v_fmac_f32_e32 v7, 0x3e9e377a, v12
	v_add_nc_u32_e32 v12, 0x438, v13
	v_lshrrev_b16 v52, 10, v4
	v_fmac_f32_e32 v20, 0x3e9e377a, v14
	v_fmac_f32_e32 v50, 0x3e9e377a, v14
	v_add_nc_u32_e32 v14, 0x440, v13
	v_add_nc_u32_e32 v0, v11, v0
	;; [unrolled: 1-line block ×3, first 2 shown]
	v_mul_lo_u16 v4, v52, 5
	ds_write2_b32 v12, v18, v21 offset1:1
	ds_write2_b32 v14, v19, v6 offset1:1
	ds_write_b32 v13, v23 offset:1096
	v_add_nc_u32_e32 v23, 0x400, v22
	s_waitcnt lgkmcnt(0)
	s_barrier
	buffer_gl0_inv
	ds_read_b32 v21, v0
	ds_read2_b32 v[29:30], v22 offset0:135 offset1:162
	ds_read2_b32 v[31:32], v24 offset0:115 offset1:142
	ds_read2_b32 v[33:34], v22 offset0:27 offset1:54
	ds_read2_b32 v[35:36], v23 offset0:41 offset1:68
	ds_read2_b32 v[37:38], v22 offset0:189 offset1:216
	ds_read2_b32 v[39:40], v22 offset0:81 offset1:108
	ds_read2_b32 v[41:42], v23 offset0:95 offset1:122
	s_waitcnt lgkmcnt(0)
	s_barrier
	buffer_gl0_inv
	ds_write2_b32 v13, v45, v44 offset1:1
	ds_write2_b32 v13, v46, v9 offset0:2 offset1:3
	ds_write2_b32 v13, v48, v28 offset0:135 offset1:136
	v_sub_nc_u16 v48, v3, v4
	v_mov_b32_e32 v8, 4
	ds_write2_b32 v13, v49, v5 offset0:137 offset1:138
	ds_write2_b32 v13, v43, v47 offset0:4 offset1:139
	ds_write2_b32 v12, v25, v20 offset1:1
	ds_write2_b32 v14, v51, v7 offset1:1
	ds_write_b32 v13, v50 offset:1096
	s_waitcnt lgkmcnt(0)
	s_barrier
	v_lshlrev_b32_sdwa v4, v8, v48 dst_sel:DWORD dst_unused:UNUSED_PAD src0_sel:DWORD src1_sel:BYTE_0
	buffer_gl0_inv
	v_add_nc_u32_e32 v25, 27, v3
	v_add_nc_u32_e32 v27, 54, v3
	;; [unrolled: 1-line block ×3, first 2 shown]
	global_load_dwordx4 v[4:7], v4, s[8:9]
	v_cmp_gt_u32_e64 s0, 15, v3
	v_and_b32_e32 v47, 0xff, v25
	v_and_b32_e32 v51, 0xff, v27
	;; [unrolled: 1-line block ×3, first 2 shown]
	v_mul_lo_u16 v9, 0xcd, v47
	v_mul_lo_u16 v26, 0xcd, v12
	v_lshrrev_b16 v49, 10, v9
	v_lshrrev_b16 v55, 10, v26
	v_add_nc_u32_e32 v26, 0x6c, v3
	v_mul_lo_u16 v9, v49, 5
	v_sub_nc_u16 v50, v25, v9
	v_lshlrev_b32_sdwa v9, v8, v50 dst_sel:DWORD dst_unused:UNUSED_PAD src0_sel:DWORD src1_sel:BYTE_0
	global_load_dwordx4 v[13:16], v9, s[8:9]
	v_mul_lo_u16 v9, 0xcd, v51
	ds_read2_b32 v[43:44], v22 offset0:135 offset1:162
	ds_read2_b32 v[45:46], v24 offset0:115 offset1:142
	v_lshrrev_b16 v53, 10, v9
	v_mul_lo_u16 v9, v53, 5
	v_sub_nc_u16 v54, v27, v9
	v_lshlrev_b32_sdwa v9, v8, v54 dst_sel:DWORD dst_unused:UNUSED_PAD src0_sel:DWORD src1_sel:BYTE_0
	global_load_dwordx4 v[17:20], v9, s[8:9]
	v_mul_lo_u16 v9, v55, 5
	v_sub_nc_u16 v56, v28, v9
	v_lshlrev_b32_sdwa v9, v8, v56 dst_sel:DWORD dst_unused:UNUSED_PAD src0_sel:DWORD src1_sel:BYTE_0
	s_waitcnt vmcnt(2) lgkmcnt(1)
	v_mul_f32_e32 v57, v43, v5
	v_mul_f32_e32 v5, v29, v5
	s_waitcnt lgkmcnt(0)
	v_mul_f32_e32 v58, v46, v7
	v_mul_f32_e32 v7, v32, v7
	v_fmac_f32_e32 v57, v29, v4
	v_fma_f32 v43, v43, v4, -v5
	v_fmac_f32_e32 v58, v32, v6
	v_fma_f32 v32, v46, v6, -v7
	global_load_dwordx4 v[4:7], v9, s[8:9]
	s_waitcnt vmcnt(2)
	v_mul_f32_e32 v46, v44, v14
	v_mul_f32_e32 v9, v30, v14
	v_fmac_f32_e32 v46, v30, v13
	ds_read2_b32 v[29:30], v23 offset0:41 offset1:68
	v_fma_f32 v44, v44, v13, -v9
	ds_read2_b32 v[13:14], v22 offset0:189 offset1:216
	v_mul_f32_e32 v9, v35, v16
	s_waitcnt lgkmcnt(1)
	v_mul_f32_e32 v59, v29, v16
	v_fma_f32 v29, v29, v15, -v9
	s_waitcnt vmcnt(1)
	v_mul_f32_e32 v9, v36, v20
	v_fmac_f32_e32 v59, v35, v15
	v_mul_f32_e32 v35, v30, v20
	s_waitcnt lgkmcnt(0)
	v_mul_f32_e32 v20, v13, v18
	v_mul_f32_e32 v15, v37, v18
	v_fma_f32 v18, v30, v19, -v9
	v_fmac_f32_e32 v35, v36, v19
	v_fmac_f32_e32 v20, v37, v17
	v_fma_f32 v17, v13, v17, -v15
	ds_read2_b32 v[15:16], v23 offset0:95 offset1:122
	v_and_b32_e32 v13, 0xff, v26
	v_mul_lo_u16 v9, 0xcd, v13
	v_lshrrev_b16 v30, 10, v9
	v_mul_lo_u16 v9, v30, 5
	v_and_b32_e32 v30, 0xffff, v30
	v_mad_u32_u24 v30, v30, 60, 0
	s_waitcnt vmcnt(0)
	v_mul_f32_e32 v19, v14, v5
	v_mul_f32_e32 v5, v38, v5
	s_waitcnt lgkmcnt(0)
	v_mul_f32_e32 v37, v15, v7
	v_fmac_f32_e32 v19, v38, v4
	v_fma_f32 v36, v14, v4, -v5
	v_mul_f32_e32 v4, v41, v7
	v_sub_nc_u16 v38, v26, v9
	v_fmac_f32_e32 v37, v41, v6
	v_mov_b32_e32 v9, 2
	v_fma_f32 v41, v15, v6, -v4
	v_lshlrev_b32_sdwa v4, v8, v38 dst_sel:DWORD dst_unused:UNUSED_PAD src0_sel:DWORD src1_sel:BYTE_0
	v_lshlrev_b32_sdwa v38, v9, v38 dst_sel:DWORD dst_unused:UNUSED_PAD src0_sel:DWORD src1_sel:BYTE_0
	global_load_dwordx4 v[4:7], v4, s[8:9]
	v_add3_u32 v30, v30, v38, v10
	s_waitcnt vmcnt(0)
	v_mul_f32_e32 v60, v45, v5
	v_mul_f32_e32 v5, v31, v5
	v_fmac_f32_e32 v60, v31, v4
	v_fma_f32 v4, v45, v4, -v5
	v_and_b32_e32 v5, 0xffff, v52
	ds_read_b32 v52, v0
	v_mul_f32_e32 v31, v16, v7
	v_mul_f32_e32 v7, v42, v7
	v_lshlrev_b32_sdwa v45, v9, v48 dst_sel:DWORD dst_unused:UNUSED_PAD src0_sel:DWORD src1_sel:BYTE_0
	v_sub_f32_e32 v48, v43, v32
	v_add_f32_e32 v61, v40, v60
	v_fmac_f32_e32 v31, v42, v6
	v_mad_u32_u24 v42, v5, 60, 0
	v_fma_f32 v7, v16, v6, -v7
	ds_read2_b32 v[5:6], v22 offset0:27 offset1:54
	ds_read2_b32 v[14:15], v22 offset0:81 offset1:108
	s_waitcnt lgkmcnt(0)
	s_barrier
	v_add3_u32 v16, v42, v45, v10
	v_add_f32_e32 v42, v57, v58
	v_add_f32_e32 v45, v21, v57
	v_sub_f32_e32 v57, v57, v58
	buffer_gl0_inv
	v_fmac_f32_e32 v21, -0.5, v42
	v_add_f32_e32 v45, v45, v58
	v_add_f32_e32 v42, v52, v43
	;; [unrolled: 1-line block ×3, first 2 shown]
	v_fmamk_f32 v58, v48, 0xbf5db3d7, v21
	v_fmac_f32_e32 v21, 0x3f5db3d7, v48
	v_add_f32_e32 v32, v42, v32
	v_fmac_f32_e32 v52, -0.5, v43
	v_add_f32_e32 v42, v33, v46
	ds_write2_b32 v16, v45, v58 offset1:5
	v_add_f32_e32 v58, v5, v44
	v_add_f32_e32 v43, v46, v59
	v_fmamk_f32 v48, v57, 0x3f5db3d7, v52
	v_fmac_f32_e32 v52, 0xbf5db3d7, v57
	v_add_f32_e32 v57, v34, v20
	v_sub_f32_e32 v45, v44, v29
	v_add_f32_e32 v44, v44, v29
	v_sub_f32_e32 v46, v46, v59
	v_add_f32_e32 v42, v42, v59
	v_add_f32_e32 v59, v20, v35
	;; [unrolled: 1-line block ×4, first 2 shown]
	v_sub_f32_e32 v20, v20, v35
	v_add_f32_e32 v35, v57, v35
	v_sub_f32_e32 v57, v17, v18
	v_add_f32_e32 v17, v17, v18
	v_fmac_f32_e32 v34, -0.5, v59
	v_add_f32_e32 v59, v39, v19
	v_add_f32_e32 v18, v58, v18
	;; [unrolled: 1-line block ×3, first 2 shown]
	v_fmac_f32_e32 v6, -0.5, v17
	v_add_f32_e32 v17, v14, v36
	v_sub_f32_e32 v19, v19, v37
	v_add_f32_e32 v37, v59, v37
	v_sub_f32_e32 v59, v36, v41
	v_add_f32_e32 v36, v36, v41
	v_add_f32_e32 v17, v17, v41
	v_add_f32_e32 v41, v60, v31
	v_add_f32_e32 v62, v15, v4
	v_fma_f32 v33, -0.5, v43, v33
	v_fma_f32 v14, -0.5, v36, v14
	v_fmamk_f32 v43, v57, 0xbf5db3d7, v34
	v_fmac_f32_e32 v40, -0.5, v41
	v_add_f32_e32 v41, v4, v7
	v_sub_f32_e32 v4, v4, v7
	v_fmac_f32_e32 v34, 0x3f5db3d7, v57
	v_fmamk_f32 v57, v20, 0x3f5db3d7, v6
	v_fmac_f32_e32 v6, 0xbf5db3d7, v20
	v_fmac_f32_e32 v15, -0.5, v41
	v_fma_f32 v20, -0.5, v58, v39
	v_fmamk_f32 v58, v19, 0x3f5db3d7, v14
	v_fmac_f32_e32 v14, 0xbf5db3d7, v19
	v_fmamk_f32 v19, v4, 0xbf5db3d7, v40
	v_fmac_f32_e32 v40, 0x3f5db3d7, v4
	v_add_f32_e32 v4, v61, v31
	v_sub_f32_e32 v31, v60, v31
	v_and_b32_e32 v36, 0xffff, v49
	v_fmamk_f32 v39, v59, 0xbf5db3d7, v20
	v_fmac_f32_e32 v20, 0x3f5db3d7, v59
	v_add_f32_e32 v49, v62, v7
	v_fmamk_f32 v59, v31, 0x3f5db3d7, v15
	v_mad_u32_u24 v7, v36, 60, 0
	v_lshlrev_b32_sdwa v36, v9, v50 dst_sel:DWORD dst_unused:UNUSED_PAD src0_sel:DWORD src1_sel:BYTE_0
	v_fmac_f32_e32 v15, 0xbf5db3d7, v31
	v_and_b32_e32 v31, 0xffff, v53
	ds_write_b32 v16, v21 offset:40
	v_and_b32_e32 v21, 0xffff, v55
	v_add3_u32 v7, v7, v36, v10
	v_lshlrev_b32_sdwa v36, v9, v54 dst_sel:DWORD dst_unused:UNUSED_PAD src0_sel:DWORD src1_sel:BYTE_0
	v_mad_u32_u24 v31, v31, 60, 0
	v_fma_f32 v63, -0.5, v44, v5
	v_mad_u32_u24 v21, v21, 60, 0
	v_lshlrev_b32_sdwa v44, v9, v56 dst_sel:DWORD dst_unused:UNUSED_PAD src0_sel:DWORD src1_sel:BYTE_0
	v_fmamk_f32 v41, v45, 0xbf5db3d7, v33
	v_fmac_f32_e32 v33, 0x3f5db3d7, v45
	v_add3_u32 v31, v31, v36, v10
	v_fmamk_f32 v5, v46, 0x3f5db3d7, v63
	v_add3_u32 v21, v21, v44, v10
	ds_write2_b32 v7, v42, v41 offset1:5
	ds_write_b32 v7, v33 offset:40
	ds_write2_b32 v31, v35, v43 offset1:5
	ds_write_b32 v31, v34 offset:40
	;; [unrolled: 2-line block ×4, first 2 shown]
	v_add_nc_u32_e32 v4, -15, v3
	v_fmac_f32_e32 v63, 0xbf5db3d7, v46
	s_waitcnt lgkmcnt(0)
	s_barrier
	buffer_gl0_inv
	v_cndmask_b32_e64 v54, v4, v3, s0
	ds_read_b32 v53, v0
	ds_read2_b32 v[33:34], v22 offset0:135 offset1:162
	ds_read2_b32 v[35:36], v24 offset0:115 offset1:142
	;; [unrolled: 1-line block ×7, first 2 shown]
	s_waitcnt lgkmcnt(0)
	s_barrier
	buffer_gl0_inv
	ds_write2_b32 v16, v32, v48 offset1:5
	ds_write_b32 v16, v52 offset:40
	ds_write2_b32 v7, v29, v5 offset1:5
	v_lshlrev_b32_e32 v4, 1, v54
	v_mov_b32_e32 v5, 0
	ds_write_b32 v7, v63 offset:40
	ds_write2_b32 v31, v18, v57 offset1:5
	ds_write_b32 v31, v6 offset:40
	ds_write2_b32 v21, v17, v58 offset1:5
	;; [unrolled: 2-line block ×3, first 2 shown]
	ds_write_b32 v30, v15 offset:40
	s_waitcnt lgkmcnt(0)
	s_barrier
	v_lshlrev_b64 v[6:7], 3, v[4:5]
	v_mul_lo_u16 v4, 0x89, v47
	buffer_gl0_inv
	ds_read2_b32 v[47:48], v24 offset0:115 offset1:142
	ds_read2_b32 v[49:50], v23 offset0:41 offset1:68
	v_add_co_u32 v6, s0, s8, v6
	v_add_co_ci_u32_e64 v7, s0, s9, v7, s0
	v_lshrrev_b16 v52, 11, v4
	global_load_dwordx4 v[14:17], v[6:7], off offset:80
	v_mul_lo_u16 v4, v52, 15
	v_sub_nc_u16 v55, v25, v4
	v_lshlrev_b32_sdwa v4, v8, v55 dst_sel:DWORD dst_unused:UNUSED_PAD src0_sel:DWORD src1_sel:BYTE_0
	global_load_dwordx4 v[18:21], v4, s[8:9] offset:80
	v_mul_lo_u16 v4, 0x89, v51
	ds_read2_b32 v[6:7], v22 offset0:135 offset1:162
	v_lshrrev_b16 v51, 11, v4
	v_mul_lo_u16 v4, v51, 15
	v_sub_nc_u16 v56, v27, v4
	v_lshlrev_b32_sdwa v4, v8, v56 dst_sel:DWORD dst_unused:UNUSED_PAD src0_sel:DWORD src1_sel:BYTE_0
	global_load_dwordx4 v[29:32], v4, s[8:9] offset:80
	s_waitcnt vmcnt(2) lgkmcnt(0)
	v_mul_f32_e32 v57, v6, v15
	v_mul_f32_e32 v4, v33, v15
	;; [unrolled: 1-line block ×4, first 2 shown]
	v_fmac_f32_e32 v57, v33, v14
	v_fma_f32 v33, v6, v14, -v4
	v_mul_lo_u16 v4, 0x89, v12
	v_fmac_f32_e32 v58, v36, v16
	v_fma_f32 v36, v48, v16, -v15
	v_mul_lo_u16 v12, 0x6d, v12
	v_lshrrev_b16 v48, 11, v4
	v_lshrrev_b16 v12, 8, v12
	v_mul_lo_u16 v4, v48, 15
	s_waitcnt vmcnt(1)
	v_mul_f32_e32 v59, v7, v19
	v_mul_f32_e32 v6, v34, v19
	v_and_b32_e32 v48, 0xffff, v48
	v_sub_nc_u16 v60, v28, v4
	v_fmac_f32_e32 v59, v34, v18
	v_mul_f32_e32 v34, v49, v21
	v_mul_f32_e32 v4, v39, v21
	v_fma_f32 v21, v7, v18, -v6
	v_lshlrev_b32_sdwa v6, v8, v60 dst_sel:DWORD dst_unused:UNUSED_PAD src0_sel:DWORD src1_sel:BYTE_0
	ds_read2_b32 v[18:19], v23 offset0:95 offset1:122
	v_fmac_f32_e32 v34, v39, v20
	v_fma_f32 v20, v49, v20, -v4
	v_mad_u32_u24 v48, 0xb4, v48, 0
	global_load_dwordx4 v[14:17], v6, s[8:9] offset:80
	ds_read2_b32 v[6:7], v22 offset0:189 offset1:216
	s_waitcnt vmcnt(1)
	v_mul_f32_e32 v39, v50, v32
	v_mul_f32_e32 v4, v40, v32
	v_fmac_f32_e32 v39, v40, v31
	v_fma_f32 v31, v50, v31, -v4
	v_mul_f32_e32 v4, v41, v30
	v_lshlrev_b32_sdwa v50, v9, v55 dst_sel:DWORD dst_unused:UNUSED_PAD src0_sel:DWORD src1_sel:BYTE_0
	s_waitcnt lgkmcnt(0)
	v_mul_f32_e32 v32, v6, v30
	v_fmac_f32_e32 v32, v41, v29
	v_fma_f32 v29, v6, v29, -v4
	v_mul_lo_u16 v4, 0x89, v13
	v_mul_lo_u16 v13, 0x6d, v13
	v_lshrrev_b16 v40, 11, v4
	v_lshlrev_b32_e32 v4, 1, v3
	v_lshrrev_b16 v13, 8, v13
	s_waitcnt vmcnt(0)
	v_mul_f32_e32 v30, v7, v15
	v_mul_f32_e32 v6, v42, v15
	;; [unrolled: 1-line block ×3, first 2 shown]
	v_fmac_f32_e32 v30, v42, v14
	v_fma_f32 v42, v7, v14, -v6
	v_mul_lo_u16 v14, v40, 15
	v_mul_f32_e32 v6, v45, v17
	v_fmac_f32_e32 v41, v45, v16
	v_and_b32_e32 v40, 0xffff, v40
	v_sub_nc_u16 v45, v26, v14
	v_fma_f32 v18, v18, v16, -v6
	v_lshlrev_b64 v[6:7], 3, v[4:5]
	v_mad_u32_u24 v40, 0xb4, v40, 0
	v_add_nc_u32_e32 v4, 18, v4
	v_lshlrev_b32_sdwa v14, v8, v45 dst_sel:DWORD dst_unused:UNUSED_PAD src0_sel:DWORD src1_sel:BYTE_0
	v_lshlrev_b32_sdwa v45, v9, v45 dst_sel:DWORD dst_unused:UNUSED_PAD src0_sel:DWORD src1_sel:BYTE_0
	v_add_co_u32 v6, s0, s8, v6
	global_load_dwordx4 v[14:17], v14, s[8:9] offset:80
	v_add_co_ci_u32_e64 v7, s0, s9, v7, s0
	v_cmp_lt_u32_e64 s0, 14, v3
	v_add3_u32 v55, v40, v45, v10
	v_add_f32_e32 v40, v53, v57
	v_add_f32_e32 v45, v57, v58
	v_sub_f32_e32 v57, v57, v58
	v_add_f32_e32 v40, v40, v58
	v_add_f32_e32 v58, v59, v34
	v_fmac_f32_e32 v53, -0.5, v45
	v_sub_f32_e32 v45, v21, v20
	s_waitcnt vmcnt(0)
	v_mul_f32_e32 v49, v47, v15
	v_mul_f32_e32 v15, v35, v15
	v_fmac_f32_e32 v49, v35, v14
	v_fma_f32 v35, v47, v14, -v15
	v_cndmask_b32_e64 v14, 0, 0xb4, s0
	v_lshlrev_b32_e32 v15, 2, v54
	v_mul_f32_e32 v54, v19, v17
	v_mul_f32_e32 v17, v46, v17
	v_cmp_gt_u32_e64 s0, 18, v3
	v_add_nc_u32_e32 v14, 0, v14
	v_fmac_f32_e32 v54, v46, v16
	v_fma_f32 v19, v19, v16, -v17
	ds_read2_b32 v[16:17], v22 offset0:81 offset1:108
	v_add3_u32 v47, v14, v15, v10
	v_and_b32_e32 v14, 0xffff, v52
	v_and_b32_e32 v15, 0xffff, v51
	v_lshlrev_b32_sdwa v51, v9, v56 dst_sel:DWORD dst_unused:UNUSED_PAD src0_sel:DWORD src1_sel:BYTE_0
	ds_read_b32 v52, v0
	v_sub_f32_e32 v46, v33, v36
	v_mad_u32_u24 v14, 0xb4, v14, 0
	v_mad_u32_u24 v15, 0xb4, v15, 0
	v_add_f32_e32 v61, v49, v54
	v_add3_u32 v50, v14, v50, v10
	v_lshlrev_b32_sdwa v14, v9, v60 dst_sel:DWORD dst_unused:UNUSED_PAD src0_sel:DWORD src1_sel:BYTE_0
	v_add3_u32 v51, v15, v51, v10
	v_add_f32_e32 v60, v37, v59
	v_sub_f32_e32 v59, v59, v34
	v_fma_f32 v37, -0.5, v58, v37
	v_add3_u32 v48, v48, v14, v10
	ds_read2_b32 v[14:15], v22 offset0:27 offset1:54
	v_add_f32_e32 v34, v60, v34
	v_add_f32_e32 v60, v32, v39
	s_waitcnt lgkmcnt(0)
	s_barrier
	buffer_gl0_inv
	v_add_f32_e32 v56, v52, v33
	v_add_f32_e32 v33, v33, v36
	;; [unrolled: 1-line block ×3, first 2 shown]
	v_fmac_f32_e32 v52, -0.5, v33
	v_add_f32_e32 v33, v38, v32
	v_sub_f32_e32 v32, v32, v39
	v_fmac_f32_e32 v38, -0.5, v60
	v_add_f32_e32 v60, v43, v30
	v_fmamk_f32 v58, v57, 0x3f5db3d7, v52
	v_add_f32_e32 v33, v33, v39
	v_sub_f32_e32 v39, v29, v31
	v_add_f32_e32 v36, v14, v21
	v_add_f32_e32 v21, v21, v20
	v_fmac_f32_e32 v52, 0xbf5db3d7, v57
	v_add_f32_e32 v20, v36, v20
	v_add_f32_e32 v36, v15, v29
	;; [unrolled: 1-line block ×3, first 2 shown]
	v_fma_f32 v14, -0.5, v21, v14
	v_add_f32_e32 v31, v36, v31
	v_fmac_f32_e32 v15, -0.5, v29
	v_add_f32_e32 v29, v16, v42
	v_add_f32_e32 v36, v30, v41
	v_sub_f32_e32 v30, v30, v41
	v_add_f32_e32 v41, v60, v41
	v_sub_f32_e32 v60, v42, v18
	v_add_f32_e32 v42, v42, v18
	v_add_f32_e32 v29, v29, v18
	;; [unrolled: 1-line block ×3, first 2 shown]
	v_sub_f32_e32 v49, v49, v54
	v_fmac_f32_e32 v44, -0.5, v61
	v_sub_f32_e32 v61, v35, v19
	v_fma_f32 v21, -0.5, v36, v43
	v_add_f32_e32 v54, v18, v54
	v_add_f32_e32 v18, v17, v35
	;; [unrolled: 1-line block ×3, first 2 shown]
	v_fma_f32 v16, -0.5, v42, v16
	v_fmamk_f32 v57, v59, 0x3f5db3d7, v14
	v_fmac_f32_e32 v14, 0xbf5db3d7, v59
	v_add_f32_e32 v62, v18, v19
	v_subrev_nc_u32_e32 v19, 18, v3
	v_fmamk_f32 v18, v46, 0xbf5db3d7, v53
	v_fmac_f32_e32 v17, -0.5, v35
	v_fmac_f32_e32 v53, 0x3f5db3d7, v46
	v_fmamk_f32 v35, v45, 0xbf5db3d7, v37
	v_cndmask_b32_e64 v63, v19, v25, s0
	ds_write2_b32 v47, v40, v18 offset1:15
	v_mov_b32_e32 v19, v5
	v_fmac_f32_e32 v37, 0x3f5db3d7, v45
	v_fmamk_f32 v36, v39, 0xbf5db3d7, v38
	v_lshlrev_b32_e32 v18, 1, v63
	v_fmac_f32_e32 v38, 0x3f5db3d7, v39
	v_fmamk_f32 v59, v32, 0x3f5db3d7, v15
	v_fmac_f32_e32 v15, 0xbf5db3d7, v32
	v_fmamk_f32 v32, v60, 0xbf5db3d7, v21
	v_lshlrev_b64 v[18:19], 3, v[18:19]
	v_fmac_f32_e32 v21, 0x3f5db3d7, v60
	v_fmamk_f32 v60, v30, 0x3f5db3d7, v16
	v_fmac_f32_e32 v16, 0xbf5db3d7, v30
	v_fmamk_f32 v30, v61, 0xbf5db3d7, v44
	v_fmac_f32_e32 v44, 0x3f5db3d7, v61
	v_add_co_u32 v18, s0, s8, v18
	v_fmamk_f32 v61, v49, 0x3f5db3d7, v17
	v_fmac_f32_e32 v17, 0xbf5db3d7, v49
	ds_write_b32 v47, v53 offset:120
	ds_write2_b32 v50, v34, v35 offset1:15
	ds_write_b32 v50, v37 offset:120
	ds_write2_b32 v51, v33, v36 offset1:15
	;; [unrolled: 2-line block ×4, first 2 shown]
	ds_write_b32 v55, v44 offset:120
	s_waitcnt lgkmcnt(0)
	s_barrier
	buffer_gl0_inv
	ds_read_b32 v53, v0
	ds_read2_b32 v[33:34], v22 offset0:135 offset1:162
	ds_read2_b32 v[35:36], v24 offset0:115 offset1:142
	ds_read2_b32 v[37:38], v22 offset0:27 offset1:54
	ds_read2_b32 v[39:40], v23 offset0:41 offset1:68
	ds_read2_b32 v[41:42], v22 offset0:189 offset1:216
	ds_read2_b32 v[43:44], v22 offset0:81 offset1:108
	ds_read2_b32 v[45:46], v23 offset0:95 offset1:122
	s_waitcnt lgkmcnt(0)
	s_barrier
	buffer_gl0_inv
	ds_write2_b32 v47, v56, v58 offset1:15
	ds_write_b32 v47, v52 offset:120
	ds_write2_b32 v50, v20, v57 offset1:15
	ds_write_b32 v50, v14 offset:120
	;; [unrolled: 2-line block ×5, first 2 shown]
	s_waitcnt lgkmcnt(0)
	s_barrier
	buffer_gl0_inv
	global_load_dwordx4 v[14:17], v[6:7], off offset:320
	v_add_co_ci_u32_e64 v19, s0, s9, v19, s0
	v_sub_nc_u16 v29, v28, v12
	v_sub_nc_u16 v30, v26, v13
	ds_read2_b32 v[47:48], v22 offset0:135 offset1:162
	global_load_dwordx4 v[18:21], v[18:19], off offset:320
	ds_read2_b32 v[49:50], v24 offset0:115 offset1:142
	v_lshrrev_b16 v29, 1, v29
	v_lshrrev_b16 v30, 1, v30
	ds_read2_b32 v[51:52], v23 offset0:41 offset1:68
	v_and_b32_e32 v29, 0x7f, v29
	v_and_b32_e32 v30, 0x7f, v30
	v_add_nc_u16 v12, v29, v12
	v_add_nc_u16 v13, v30, v13
	v_lshrrev_b16 v54, 5, v12
	v_lshrrev_b16 v29, 5, v13
	v_lshlrev_b64 v[12:13], 3, v[4:5]
	v_mul_lo_u16 v4, v54, 45
	v_mul_lo_u16 v29, v29, 45
	v_add_co_u32 v12, s0, s8, v12
	v_add_co_ci_u32_e64 v13, s0, s9, v13, s0
	v_sub_nc_u16 v55, v26, v29
	v_sub_nc_u16 v4, v28, v4
	v_cmp_lt_u32_e64 s0, 17, v3
	global_load_dwordx4 v[29:32], v[12:13], off offset:320
	v_lshlrev_b32_sdwa v8, v8, v4 dst_sel:DWORD dst_unused:UNUSED_PAD src0_sel:DWORD src1_sel:BYTE_0
	v_lshlrev_b32_sdwa v4, v9, v4 dst_sel:DWORD dst_unused:UNUSED_PAD src0_sel:DWORD src1_sel:BYTE_0
	s_waitcnt vmcnt(2) lgkmcnt(2)
	v_mul_f32_e32 v56, v47, v15
	v_mul_f32_e32 v12, v33, v15
	s_waitcnt lgkmcnt(1)
	v_mul_f32_e32 v57, v50, v17
	v_mul_f32_e32 v13, v36, v17
	v_fmac_f32_e32 v56, v33, v14
	v_fma_f32 v33, v47, v14, -v12
	v_fmac_f32_e32 v57, v36, v16
	v_fma_f32 v36, v50, v16, -v13
	global_load_dwordx4 v[12:15], v8, s[8:9] offset:320
	s_waitcnt vmcnt(2)
	v_mul_f32_e32 v47, v48, v19
	v_mul_f32_e32 v8, v34, v19
	v_and_b32_e32 v50, 0xff, v55
	v_mul_f32_e32 v16, v39, v21
	v_fmac_f32_e32 v47, v34, v18
	s_waitcnt lgkmcnt(0)
	v_mul_f32_e32 v34, v51, v21
	v_fma_f32 v48, v48, v18, -v8
	v_lshlrev_b32_e32 v8, 4, v50
	v_and_b32_e32 v21, 0xffff, v54
	v_lshl_add_u32 v50, v50, 2, v11
	v_fmac_f32_e32 v34, v39, v20
	v_fma_f32 v39, v51, v20, -v16
	global_load_dwordx4 v[16:19], v8, s[8:9] offset:320
	ds_read2_b32 v[8:9], v22 offset0:189 offset1:216
	v_cndmask_b32_e64 v20, 0, 0x21c, s0
	v_lshlrev_b32_e32 v51, 2, v63
	v_mad_u32_u24 v21, 0x21c, v21, 0
	v_add_nc_u32_e32 v20, 0, v20
	v_add3_u32 v4, v21, v4, v10
	v_add3_u32 v51, v20, v51, v10
	ds_read2_b32 v[20:21], v23 offset0:95 offset1:122
	s_waitcnt vmcnt(2)
	v_mul_f32_e32 v10, v52, v32
	v_mul_f32_e32 v11, v40, v32
	v_fmac_f32_e32 v10, v40, v31
	s_waitcnt lgkmcnt(1)
	v_mul_f32_e32 v40, v8, v30
	v_mul_f32_e32 v30, v41, v30
	v_fma_f32 v11, v52, v31, -v11
	ds_read2_b32 v[31:32], v22 offset0:81 offset1:108
	v_add_nc_u32_e32 v52, 0x400, v50
	v_fmac_f32_e32 v40, v41, v29
	v_fma_f32 v8, v8, v29, -v30
	ds_read2_b32 v[29:30], v22 offset0:27 offset1:54
	ds_read_b32 v41, v0
	s_waitcnt vmcnt(0) lgkmcnt(0)
	v_add_f32_e32 v55, v38, v40
	v_sub_f32_e32 v58, v8, v11
	s_barrier
	buffer_gl0_inv
	v_add_f32_e32 v59, v30, v8
	v_add_f32_e32 v8, v8, v11
	v_fmac_f32_e32 v30, -0.5, v8
	v_mul_f32_e32 v54, v9, v13
	v_mul_f32_e32 v13, v42, v13
	v_fmac_f32_e32 v54, v42, v12
	v_mul_f32_e32 v42, v20, v15
	v_mul_f32_e32 v15, v45, v15
	v_fma_f32 v9, v9, v12, -v13
	v_fmac_f32_e32 v42, v45, v14
	v_fma_f32 v12, v20, v14, -v15
	v_add_f32_e32 v20, v33, v36
	v_mul_f32_e32 v13, v49, v17
	v_mul_f32_e32 v14, v35, v17
	;; [unrolled: 1-line block ×4, first 2 shown]
	v_add_f32_e32 v19, v41, v33
	v_fmac_f32_e32 v13, v35, v16
	v_fma_f32 v14, v49, v16, -v14
	v_fmac_f32_e32 v15, v46, v18
	v_fma_f32 v35, v21, v18, -v17
	v_add_f32_e32 v17, v56, v57
	v_add_f32_e32 v49, v29, v48
	;; [unrolled: 1-line block ×3, first 2 shown]
	v_sub_f32_e32 v18, v33, v36
	v_sub_f32_e32 v21, v56, v57
	v_add_f32_e32 v33, v37, v47
	v_add_f32_e32 v45, v47, v34
	;; [unrolled: 1-line block ×3, first 2 shown]
	v_sub_f32_e32 v46, v48, v39
	v_add_f32_e32 v48, v48, v39
	v_fmac_f32_e32 v53, -0.5, v17
	v_add_f32_e32 v17, v54, v42
	v_add_f32_e32 v39, v49, v39
	v_add_f32_e32 v49, v13, v15
	v_add_f32_e32 v16, v16, v57
	v_add_f32_e32 v57, v43, v54
	v_fmac_f32_e32 v41, -0.5, v20
	v_add_f32_e32 v20, v31, v9
	v_sub_f32_e32 v47, v47, v34
	v_sub_f32_e32 v40, v40, v10
	v_add_f32_e32 v33, v33, v34
	v_add_f32_e32 v34, v44, v13
	;; [unrolled: 1-line block ×3, first 2 shown]
	v_sub_f32_e32 v55, v14, v35
	v_fmac_f32_e32 v38, -0.5, v56
	v_add_f32_e32 v56, v32, v14
	v_add_f32_e32 v14, v14, v35
	v_sub_f32_e32 v60, v13, v15
	v_fma_f32 v13, -0.5, v45, v37
	v_add_f32_e32 v36, v19, v36
	v_sub_f32_e32 v19, v9, v12
	v_add_f32_e32 v9, v9, v12
	v_add_f32_e32 v45, v59, v11
	v_fma_f32 v11, -0.5, v17, v43
	v_fmac_f32_e32 v44, -0.5, v49
	v_sub_f32_e32 v54, v54, v42
	v_add_f32_e32 v8, v57, v42
	v_add_f32_e32 v42, v20, v12
	v_fmamk_f32 v12, v18, 0xbf5db3d7, v53
	v_fmac_f32_e32 v53, 0x3f5db3d7, v18
	v_fmac_f32_e32 v32, -0.5, v14
	v_fmamk_f32 v14, v46, 0xbf5db3d7, v13
	v_fmac_f32_e32 v13, 0x3f5db3d7, v46
	v_fma_f32 v31, -0.5, v9, v31
	v_add_f32_e32 v9, v34, v15
	v_fmamk_f32 v15, v58, 0xbf5db3d7, v38
	v_fmamk_f32 v17, v19, 0xbf5db3d7, v11
	v_fmac_f32_e32 v11, 0x3f5db3d7, v19
	v_fmamk_f32 v18, v55, 0xbf5db3d7, v44
	v_fma_f32 v37, -0.5, v48, v29
	v_fmamk_f32 v34, v21, 0x3f5db3d7, v41
	v_fmac_f32_e32 v41, 0xbf5db3d7, v21
	v_fmac_f32_e32 v38, 0x3f5db3d7, v58
	;; [unrolled: 1-line block ×3, first 2 shown]
	ds_write2_b32 v22, v16, v12 offset1:45
	ds_write_b32 v22, v53 offset:360
	ds_write2_b32 v51, v33, v14 offset1:45
	ds_write_b32 v51, v13 offset:360
	ds_write2_b32 v22, v10, v15 offset0:144 offset1:189
	ds_write_b32 v22, v38 offset:936
	ds_write2_b32 v4, v8, v17 offset1:45
	ds_write_b32 v4, v11 offset:360
	ds_write2_b32 v52, v9, v18 offset0:14 offset1:59
	ds_write_b32 v50, v44 offset:1440
	s_waitcnt lgkmcnt(0)
	s_barrier
	buffer_gl0_inv
	ds_read_b32 v29, v0
	ds_read2_b32 v[10:11], v22 offset0:135 offset1:162
	ds_read2_b32 v[20:21], v24 offset0:115 offset1:142
	;; [unrolled: 1-line block ×7, first 2 shown]
	v_fmamk_f32 v43, v47, 0x3f5db3d7, v37
	v_fmac_f32_e32 v37, 0xbf5db3d7, v47
	v_fmamk_f32 v46, v40, 0x3f5db3d7, v30
	v_fmac_f32_e32 v30, 0xbf5db3d7, v40
	;; [unrolled: 2-line block ×3, first 2 shown]
	v_add_f32_e32 v33, v56, v35
	v_fmamk_f32 v35, v60, 0x3f5db3d7, v32
	v_fmac_f32_e32 v32, 0xbf5db3d7, v60
	s_waitcnt lgkmcnt(0)
	s_barrier
	buffer_gl0_inv
	ds_write2_b32 v22, v36, v34 offset1:45
	ds_write_b32 v22, v41 offset:360
	ds_write2_b32 v51, v39, v43 offset1:45
	ds_write_b32 v51, v37 offset:360
	ds_write2_b32 v22, v45, v46 offset0:144 offset1:189
	ds_write_b32 v22, v30 offset:936
	ds_write2_b32 v4, v42, v40 offset1:45
	ds_write_b32 v4, v31 offset:360
	ds_write2_b32 v52, v33, v35 offset0:14 offset1:59
	ds_write_b32 v50, v32 offset:1440
	s_waitcnt lgkmcnt(0)
	s_barrier
	buffer_gl0_inv
	s_and_saveexec_b32 s0, vcc_lo
	s_cbranch_execz .LBB0_13
; %bb.12:
	v_lshlrev_b32_e32 v4, 1, v26
	global_load_dwordx4 v[34:37], v[6:7], off offset:1040
	v_lshlrev_b64 v[30:31], 3, v[4:5]
	v_lshlrev_b32_e32 v4, 1, v28
	v_mul_hi_u32 v28, 0xf2b9d649, v26
	v_add_co_u32 v30, vcc_lo, s8, v30
	v_lshlrev_b64 v[38:39], 3, v[4:5]
	v_add_co_ci_u32_e32 v31, vcc_lo, s9, v31, vcc_lo
	v_lshlrev_b32_e32 v4, 1, v27
	v_lshrrev_b32_e32 v28, 7, v28
	global_load_dwordx4 v[30:33], v[30:31], off offset:1040
	v_add_co_u32 v6, vcc_lo, s8, v38
	v_add_co_ci_u32_e32 v7, vcc_lo, s9, v39, vcc_lo
	global_load_dwordx4 v[38:41], v[6:7], off offset:1040
	v_lshlrev_b64 v[6:7], 3, v[4:5]
	v_lshlrev_b32_e32 v4, 1, v25
	v_add_co_u32 v6, vcc_lo, s8, v6
	v_add_co_ci_u32_e32 v7, vcc_lo, s9, v7, vcc_lo
	global_load_dwordx4 v[42:45], v[6:7], off offset:1040
	v_lshlrev_b64 v[6:7], 3, v[4:5]
	v_mov_b32_e32 v4, v5
	v_add_co_u32 v6, vcc_lo, s8, v6
	v_add_co_ci_u32_e32 v7, vcc_lo, s9, v7, vcc_lo
	v_lshlrev_b64 v[56:57], 3, v[3:4]
	v_mul_u32_u24_e32 v4, 0x10e, v28
	v_add_co_u32 v3, vcc_lo, s2, v1
	global_load_dwordx4 v[46:49], v[6:7], off offset:1040
	ds_read2_b32 v[6:7], v22 offset0:81 offset1:108
	ds_read2_b32 v[24:25], v24 offset0:115 offset1:142
	ds_read2_b32 v[26:27], v23 offset0:95 offset1:122
	ds_read2_b32 v[50:51], v22 offset0:189 offset1:216
	ds_read2_b32 v[52:53], v22 offset0:27 offset1:54
	ds_read2_b32 v[54:55], v23 offset0:41 offset1:68
	ds_read2_b32 v[22:23], v22 offset0:135 offset1:162
	v_add_co_ci_u32_e32 v28, vcc_lo, s3, v2, vcc_lo
	v_lshlrev_b64 v[1:2], 3, v[4:5]
	v_add_co_u32 v3, vcc_lo, v3, v56
	v_add_co_ci_u32_e32 v4, vcc_lo, v28, v57, vcc_lo
	ds_read_b32 v5, v0
	v_add_co_u32 v0, vcc_lo, v3, v1
	v_add_co_ci_u32_e32 v1, vcc_lo, v4, v2, vcc_lo
	v_add_co_u32 v56, vcc_lo, 0x800, v3
	v_add_co_ci_u32_e32 v57, vcc_lo, 0, v4, vcc_lo
	s_waitcnt vmcnt(3)
	v_mul_f32_e32 v2, v20, v31
	v_mul_f32_e32 v28, v19, v33
	s_waitcnt lgkmcnt(6)
	v_mul_f32_e32 v31, v24, v31
	s_waitcnt lgkmcnt(5)
	v_mul_f32_e32 v33, v27, v33
	v_fma_f32 v2, v24, v30, -v2
	v_fma_f32 v24, v27, v32, -v28
	v_mul_f32_e32 v27, v21, v37
	v_fmac_f32_e32 v31, v20, v30
	v_mul_f32_e32 v28, v25, v37
	s_waitcnt lgkmcnt(1)
	v_mul_f32_e32 v30, v22, v35
	v_fmac_f32_e32 v33, v19, v32
	v_fma_f32 v25, v25, v36, -v27
	v_mul_f32_e32 v27, v10, v35
	v_fmac_f32_e32 v28, v21, v36
	s_waitcnt vmcnt(2)
	v_mul_f32_e32 v21, v17, v39
	v_mul_f32_e32 v32, v18, v41
	v_fmac_f32_e32 v30, v10, v34
	v_fma_f32 v27, v22, v34, -v27
	v_mul_f32_e32 v10, v51, v39
	v_mul_f32_e32 v34, v26, v41
	v_add_f32_e32 v22, v2, v24
	v_fma_f32 v32, v26, v40, -v32
	v_add_f32_e32 v26, v7, v2
	v_add_f32_e32 v36, v31, v33
	v_fma_f32 v37, v51, v38, -v21
	v_fmac_f32_e32 v10, v17, v38
	v_fmac_f32_e32 v34, v18, v40
	s_waitcnt vmcnt(1)
	v_mul_f32_e32 v38, v16, v43
	v_mul_f32_e32 v39, v13, v45
	;; [unrolled: 1-line block ×4, first 2 shown]
	v_sub_f32_e32 v35, v31, v33
	v_add_f32_e32 v31, v15, v31
	v_sub_f32_e32 v2, v2, v24
	v_add_f32_e32 v43, v27, v25
	;; [unrolled: 2-line block ×3, first 2 shown]
	s_waitcnt lgkmcnt(0)
	v_add_f32_e32 v24, v5, v27
	v_fma_f32 v22, -0.5, v22, v7
	v_fma_f32 v21, -0.5, v36, v15
	v_add_f32_e32 v7, v30, v28
	v_add_f32_e32 v26, v29, v30
	v_fma_f32 v30, v50, v42, -v38
	v_sub_f32_e32 v36, v10, v34
	v_fmac_f32_e32 v40, v16, v42
	v_add_f32_e32 v38, v6, v37
	v_add_f32_e32 v42, v10, v34
	;; [unrolled: 1-line block ×3, first 2 shown]
	v_fma_f32 v39, v55, v44, -v39
	v_fmac_f32_e32 v41, v13, v44
	s_waitcnt vmcnt(0)
	v_mul_f32_e32 v13, v11, v47
	v_mul_f32_e32 v44, v12, v49
	;; [unrolled: 1-line block ×4, first 2 shown]
	v_add_f32_e32 v17, v31, v33
	v_add_f32_e32 v33, v37, v32
	v_sub_f32_e32 v31, v27, v25
	v_sub_f32_e32 v37, v37, v32
	v_fma_f32 v16, -0.5, v43, v5
	v_add_f32_e32 v25, v24, v25
	v_fma_f32 v15, -0.5, v7, v29
	v_add_f32_e32 v24, v26, v28
	v_fmamk_f32 v27, v35, 0xbf5db3d7, v22
	v_fmac_f32_e32 v22, 0x3f5db3d7, v35
	v_fmamk_f32 v26, v2, 0x3f5db3d7, v21
	v_fmac_f32_e32 v21, 0xbf5db3d7, v2
	v_add_f32_e32 v29, v38, v32
	v_fma_f32 v5, -0.5, v42, v14
	v_add_f32_e32 v28, v10, v34
	v_add_f32_e32 v2, v30, v39
	;; [unrolled: 1-line block ×4, first 2 shown]
	v_fma_f32 v34, v23, v46, -v13
	v_fma_f32 v35, v54, v48, -v44
	v_fmac_f32_e32 v47, v11, v46
	v_fmac_f32_e32 v49, v12, v48
	v_fma_f32 v6, -0.5, v33, v6
	v_sub_f32_e32 v33, v30, v39
	v_add_f32_e32 v30, v9, v40
	v_fmamk_f32 v11, v45, 0xbf5db3d7, v16
	v_fmac_f32_e32 v16, 0x3f5db3d7, v45
	v_fmamk_f32 v10, v31, 0x3f5db3d7, v15
	v_fmac_f32_e32 v15, 0xbf5db3d7, v31
	global_store_dwordx2 v[3:4], v[24:25], off
	v_fma_f32 v24, -0.5, v2, v53
	v_add_f32_e32 v31, v14, v39
	v_fma_f32 v23, -0.5, v32, v9
	v_add_f32_e32 v2, v34, v35
	v_add_f32_e32 v14, v52, v34
	;; [unrolled: 1-line block ×3, first 2 shown]
	v_fmamk_f32 v13, v36, 0xbf5db3d7, v6
	v_fmac_f32_e32 v6, 0x3f5db3d7, v36
	v_add_f32_e32 v36, v8, v47
	v_sub_f32_e32 v7, v40, v41
	v_add_f32_e32 v30, v30, v41
	v_sub_f32_e32 v25, v47, v49
	v_sub_f32_e32 v34, v34, v35
	global_store_dwordx2 v[3:4], v[15:16], off offset:1080
	global_store_dwordx2 v[56:57], v[10:11], off offset:112
	;; [unrolled: 1-line block ×3, first 2 shown]
	v_fma_f32 v15, -0.5, v2, v52
	v_add_f32_e32 v29, v14, v35
	v_fma_f32 v14, -0.5, v32, v8
	v_fmamk_f32 v12, v37, 0x3f5db3d7, v5
	v_fmac_f32_e32 v5, 0xbf5db3d7, v37
	v_add_f32_e32 v28, v36, v49
	v_fmamk_f32 v10, v7, 0xbf5db3d7, v24
	v_fmac_f32_e32 v24, 0x3f5db3d7, v7
	v_fmamk_f32 v9, v33, 0x3f5db3d7, v23
	v_fmac_f32_e32 v23, 0xbf5db3d7, v33
	v_add_co_u32 v19, vcc_lo, 0x800, v0
	global_store_dwordx2 v[3:4], v[30:31], off offset:432
	global_store_dwordx2 v[3:4], v[5:6], off offset:1728
	v_fmamk_f32 v6, v25, 0xbf5db3d7, v15
	v_fmac_f32_e32 v15, 0x3f5db3d7, v25
	v_fmamk_f32 v5, v34, 0x3f5db3d7, v14
	v_fmac_f32_e32 v14, 0xbf5db3d7, v34
	v_add_co_ci_u32_e32 v20, vcc_lo, 0, v1, vcc_lo
	global_store_dwordx2 v[56:57], v[12:13], off offset:760
	global_store_dwordx2 v[3:4], v[28:29], off offset:216
	;; [unrolled: 1-line block ×9, first 2 shown]
.LBB0_13:
	s_endpgm
	.section	.rodata,"a",@progbits
	.p2align	6, 0x0
	.amdhsa_kernel fft_rtc_back_len405_factors_5_3_3_3_3_wgs_108_tpt_27_halfLds_sp_ip_CI_unitstride_sbrr_dirReg
		.amdhsa_group_segment_fixed_size 0
		.amdhsa_private_segment_fixed_size 0
		.amdhsa_kernarg_size 88
		.amdhsa_user_sgpr_count 6
		.amdhsa_user_sgpr_private_segment_buffer 1
		.amdhsa_user_sgpr_dispatch_ptr 0
		.amdhsa_user_sgpr_queue_ptr 0
		.amdhsa_user_sgpr_kernarg_segment_ptr 1
		.amdhsa_user_sgpr_dispatch_id 0
		.amdhsa_user_sgpr_flat_scratch_init 0
		.amdhsa_user_sgpr_private_segment_size 0
		.amdhsa_wavefront_size32 1
		.amdhsa_uses_dynamic_stack 0
		.amdhsa_system_sgpr_private_segment_wavefront_offset 0
		.amdhsa_system_sgpr_workgroup_id_x 1
		.amdhsa_system_sgpr_workgroup_id_y 0
		.amdhsa_system_sgpr_workgroup_id_z 0
		.amdhsa_system_sgpr_workgroup_info 0
		.amdhsa_system_vgpr_workitem_id 0
		.amdhsa_next_free_vgpr 64
		.amdhsa_next_free_sgpr 21
		.amdhsa_reserve_vcc 1
		.amdhsa_reserve_flat_scratch 0
		.amdhsa_float_round_mode_32 0
		.amdhsa_float_round_mode_16_64 0
		.amdhsa_float_denorm_mode_32 3
		.amdhsa_float_denorm_mode_16_64 3
		.amdhsa_dx10_clamp 1
		.amdhsa_ieee_mode 1
		.amdhsa_fp16_overflow 0
		.amdhsa_workgroup_processor_mode 1
		.amdhsa_memory_ordered 1
		.amdhsa_forward_progress 0
		.amdhsa_shared_vgpr_count 0
		.amdhsa_exception_fp_ieee_invalid_op 0
		.amdhsa_exception_fp_denorm_src 0
		.amdhsa_exception_fp_ieee_div_zero 0
		.amdhsa_exception_fp_ieee_overflow 0
		.amdhsa_exception_fp_ieee_underflow 0
		.amdhsa_exception_fp_ieee_inexact 0
		.amdhsa_exception_int_div_zero 0
	.end_amdhsa_kernel
	.text
.Lfunc_end0:
	.size	fft_rtc_back_len405_factors_5_3_3_3_3_wgs_108_tpt_27_halfLds_sp_ip_CI_unitstride_sbrr_dirReg, .Lfunc_end0-fft_rtc_back_len405_factors_5_3_3_3_3_wgs_108_tpt_27_halfLds_sp_ip_CI_unitstride_sbrr_dirReg
                                        ; -- End function
	.section	.AMDGPU.csdata,"",@progbits
; Kernel info:
; codeLenInByte = 7944
; NumSgprs: 23
; NumVgprs: 64
; ScratchSize: 0
; MemoryBound: 0
; FloatMode: 240
; IeeeMode: 1
; LDSByteSize: 0 bytes/workgroup (compile time only)
; SGPRBlocks: 2
; VGPRBlocks: 7
; NumSGPRsForWavesPerEU: 23
; NumVGPRsForWavesPerEU: 64
; Occupancy: 16
; WaveLimiterHint : 1
; COMPUTE_PGM_RSRC2:SCRATCH_EN: 0
; COMPUTE_PGM_RSRC2:USER_SGPR: 6
; COMPUTE_PGM_RSRC2:TRAP_HANDLER: 0
; COMPUTE_PGM_RSRC2:TGID_X_EN: 1
; COMPUTE_PGM_RSRC2:TGID_Y_EN: 0
; COMPUTE_PGM_RSRC2:TGID_Z_EN: 0
; COMPUTE_PGM_RSRC2:TIDIG_COMP_CNT: 0
	.text
	.p2alignl 6, 3214868480
	.fill 48, 4, 3214868480
	.type	__hip_cuid_327f1da8890ce1a5,@object ; @__hip_cuid_327f1da8890ce1a5
	.section	.bss,"aw",@nobits
	.globl	__hip_cuid_327f1da8890ce1a5
__hip_cuid_327f1da8890ce1a5:
	.byte	0                               ; 0x0
	.size	__hip_cuid_327f1da8890ce1a5, 1

	.ident	"AMD clang version 19.0.0git (https://github.com/RadeonOpenCompute/llvm-project roc-6.4.0 25133 c7fe45cf4b819c5991fe208aaa96edf142730f1d)"
	.section	".note.GNU-stack","",@progbits
	.addrsig
	.addrsig_sym __hip_cuid_327f1da8890ce1a5
	.amdgpu_metadata
---
amdhsa.kernels:
  - .args:
      - .actual_access:  read_only
        .address_space:  global
        .offset:         0
        .size:           8
        .value_kind:     global_buffer
      - .offset:         8
        .size:           8
        .value_kind:     by_value
      - .actual_access:  read_only
        .address_space:  global
        .offset:         16
        .size:           8
        .value_kind:     global_buffer
      - .actual_access:  read_only
        .address_space:  global
        .offset:         24
        .size:           8
        .value_kind:     global_buffer
      - .offset:         32
        .size:           8
        .value_kind:     by_value
      - .actual_access:  read_only
        .address_space:  global
        .offset:         40
        .size:           8
        .value_kind:     global_buffer
      - .actual_access:  read_only
        .address_space:  global
        .offset:         48
        .size:           8
        .value_kind:     global_buffer
      - .offset:         56
        .size:           4
        .value_kind:     by_value
      - .actual_access:  read_only
        .address_space:  global
        .offset:         64
        .size:           8
        .value_kind:     global_buffer
      - .actual_access:  read_only
        .address_space:  global
        .offset:         72
        .size:           8
        .value_kind:     global_buffer
      - .address_space:  global
        .offset:         80
        .size:           8
        .value_kind:     global_buffer
    .group_segment_fixed_size: 0
    .kernarg_segment_align: 8
    .kernarg_segment_size: 88
    .language:       OpenCL C
    .language_version:
      - 2
      - 0
    .max_flat_workgroup_size: 108
    .name:           fft_rtc_back_len405_factors_5_3_3_3_3_wgs_108_tpt_27_halfLds_sp_ip_CI_unitstride_sbrr_dirReg
    .private_segment_fixed_size: 0
    .sgpr_count:     23
    .sgpr_spill_count: 0
    .symbol:         fft_rtc_back_len405_factors_5_3_3_3_3_wgs_108_tpt_27_halfLds_sp_ip_CI_unitstride_sbrr_dirReg.kd
    .uniform_work_group_size: 1
    .uses_dynamic_stack: false
    .vgpr_count:     64
    .vgpr_spill_count: 0
    .wavefront_size: 32
    .workgroup_processor_mode: 1
amdhsa.target:   amdgcn-amd-amdhsa--gfx1030
amdhsa.version:
  - 1
  - 2
...

	.end_amdgpu_metadata
